;; amdgpu-corpus repo=GPUOpen-LibrariesAndSDKs/Orochi kind=compiled arch=gfx1201 opt=O3
	.amdgcn_target "amdgcn-amd-amdhsa--gfx1201"
	.amdhsa_code_object_version 6
	.text
	.protected	wmma_matmul             ; -- Begin function wmma_matmul
	.globl	wmma_matmul
	.p2align	8
	.type	wmma_matmul,@function
wmma_matmul:                            ; @wmma_matmul
; %bb.0:
	s_load_b128 s[4:7], s[0:1], 0x0
	v_and_b32_e32 v4, 15, v0
	v_lshrrev_b32_e32 v5, 4, v0
	s_load_b64 s[0:1], s[0:1], 0x10
	s_delay_alu instid0(VALU_DEP_2) | instskip(SKIP_1) | instid1(VALU_DEP_2)
	v_lshlrev_b32_e32 v0, 1, v4
	v_lshlrev_b32_e32 v4, 4, v4
	v_lshl_or_b32 v12, v5, 8, v0
	v_lshlrev_b32_e32 v5, 3, v5
	s_wait_kmcnt 0x0
	s_clause 0x3
	global_load_u16 v0, v12, s[6:7]
	global_load_u16 v1, v12, s[6:7] offset:64
	global_load_u16 v2, v12, s[6:7] offset:128
	;; [unrolled: 1-line block ×3, first 2 shown]
	v_add_lshl_u32 v4, v5, v4, 1
	global_load_b128 v[4:7], v4, s[4:5]
	s_wait_loadcnt 0x4
	global_load_d16_hi_b16 v0, v12, s[6:7] offset:32
	s_wait_loadcnt 0x4
	global_load_d16_hi_b16 v1, v12, s[6:7] offset:96
	;; [unrolled: 2-line block ×4, first 2 shown]
	s_wait_loadcnt 0x0
	v_wmma_f16_16x16x16_f16 v[8:11], v[4:7], v[0:3], 0
	s_clause 0x7
	global_store_b16 v12, v8, s[0:1]
	global_store_d16_hi_b16 v12, v8, s[0:1] offset:32
	global_store_b16 v12, v9, s[0:1] offset:64
	global_store_d16_hi_b16 v12, v9, s[0:1] offset:96
	global_store_b16 v12, v10, s[0:1] offset:128
	;; [unrolled: 2-line block ×3, first 2 shown]
	global_store_d16_hi_b16 v12, v11, s[0:1] offset:224
	s_endpgm
	.section	.rodata,"a",@progbits
	.p2align	6, 0x0
	.amdhsa_kernel wmma_matmul
		.amdhsa_group_segment_fixed_size 0
		.amdhsa_private_segment_fixed_size 0
		.amdhsa_kernarg_size 24
		.amdhsa_user_sgpr_count 2
		.amdhsa_user_sgpr_dispatch_ptr 0
		.amdhsa_user_sgpr_queue_ptr 0
		.amdhsa_user_sgpr_kernarg_segment_ptr 1
		.amdhsa_user_sgpr_dispatch_id 0
		.amdhsa_user_sgpr_private_segment_size 0
		.amdhsa_wavefront_size32 1
		.amdhsa_uses_dynamic_stack 0
		.amdhsa_enable_private_segment 0
		.amdhsa_system_sgpr_workgroup_id_x 1
		.amdhsa_system_sgpr_workgroup_id_y 0
		.amdhsa_system_sgpr_workgroup_id_z 0
		.amdhsa_system_sgpr_workgroup_info 0
		.amdhsa_system_vgpr_workitem_id 0
		.amdhsa_next_free_vgpr 13
		.amdhsa_next_free_sgpr 8
		.amdhsa_reserve_vcc 0
		.amdhsa_float_round_mode_32 0
		.amdhsa_float_round_mode_16_64 0
		.amdhsa_float_denorm_mode_32 3
		.amdhsa_float_denorm_mode_16_64 3
		.amdhsa_fp16_overflow 0
		.amdhsa_workgroup_processor_mode 1
		.amdhsa_memory_ordered 1
		.amdhsa_forward_progress 1
		.amdhsa_inst_pref_size 3
		.amdhsa_round_robin_scheduling 0
		.amdhsa_exception_fp_ieee_invalid_op 0
		.amdhsa_exception_fp_denorm_src 0
		.amdhsa_exception_fp_ieee_div_zero 0
		.amdhsa_exception_fp_ieee_overflow 0
		.amdhsa_exception_fp_ieee_underflow 0
		.amdhsa_exception_fp_ieee_inexact 0
		.amdhsa_exception_int_div_zero 0
	.end_amdhsa_kernel
	.text
.Lfunc_end0:
	.size	wmma_matmul, .Lfunc_end0-wmma_matmul
                                        ; -- End function
	.set wmma_matmul.num_vgpr, 13
	.set wmma_matmul.num_agpr, 0
	.set wmma_matmul.numbered_sgpr, 8
	.set wmma_matmul.num_named_barrier, 0
	.set wmma_matmul.private_seg_size, 0
	.set wmma_matmul.uses_vcc, 0
	.set wmma_matmul.uses_flat_scratch, 0
	.set wmma_matmul.has_dyn_sized_stack, 0
	.set wmma_matmul.has_recursion, 0
	.set wmma_matmul.has_indirect_call, 0
	.section	.AMDGPU.csdata,"",@progbits
; Kernel info:
; codeLenInByte = 304
; TotalNumSgprs: 8
; NumVgprs: 13
; ScratchSize: 0
; MemoryBound: 0
; FloatMode: 240
; IeeeMode: 1
; LDSByteSize: 0 bytes/workgroup (compile time only)
; SGPRBlocks: 0
; VGPRBlocks: 1
; NumSGPRsForWavesPerEU: 8
; NumVGPRsForWavesPerEU: 13
; Occupancy: 16
; WaveLimiterHint : 0
; COMPUTE_PGM_RSRC2:SCRATCH_EN: 0
; COMPUTE_PGM_RSRC2:USER_SGPR: 2
; COMPUTE_PGM_RSRC2:TRAP_HANDLER: 0
; COMPUTE_PGM_RSRC2:TGID_X_EN: 1
; COMPUTE_PGM_RSRC2:TGID_Y_EN: 0
; COMPUTE_PGM_RSRC2:TGID_Z_EN: 0
; COMPUTE_PGM_RSRC2:TIDIG_COMP_CNT: 0
	.text
	.p2alignl 7, 3214868480
	.fill 96, 4, 3214868480
	.section	.AMDGPU.gpr_maximums,"",@progbits
	.set amdgpu.max_num_vgpr, 0
	.set amdgpu.max_num_agpr, 0
	.set amdgpu.max_num_sgpr, 0
	.text
	.type	__hip_cuid_9a8021c2d511b5f6,@object ; @__hip_cuid_9a8021c2d511b5f6
	.section	.bss,"aw",@nobits
	.globl	__hip_cuid_9a8021c2d511b5f6
__hip_cuid_9a8021c2d511b5f6:
	.byte	0                               ; 0x0
	.size	__hip_cuid_9a8021c2d511b5f6, 1

	.ident	"AMD clang version 22.0.0git (https://github.com/RadeonOpenCompute/llvm-project roc-7.2.4 26084 f58b06dce1f9c15707c5f808fd002e18c2accf7e)"
	.section	".note.GNU-stack","",@progbits
	.addrsig
	.addrsig_sym __hip_cuid_9a8021c2d511b5f6
	.amdgpu_metadata
---
amdhsa.kernels:
  - .args:
      - .address_space:  global
        .offset:         0
        .size:           8
        .value_kind:     global_buffer
      - .address_space:  global
        .offset:         8
        .size:           8
        .value_kind:     global_buffer
      - .address_space:  global
        .offset:         16
        .size:           8
        .value_kind:     global_buffer
    .group_segment_fixed_size: 0
    .kernarg_segment_align: 8
    .kernarg_segment_size: 24
    .language:       OpenCL C
    .language_version:
      - 2
      - 0
    .max_flat_workgroup_size: 1024
    .name:           wmma_matmul
    .private_segment_fixed_size: 0
    .sgpr_count:     8
    .sgpr_spill_count: 0
    .symbol:         wmma_matmul.kd
    .uniform_work_group_size: 1
    .uses_dynamic_stack: false
    .vgpr_count:     13
    .vgpr_spill_count: 0
    .wavefront_size: 32
    .workgroup_processor_mode: 1
amdhsa.target:   amdgcn-amd-amdhsa--gfx1201
amdhsa.version:
  - 1
  - 2
...

	.end_amdgpu_metadata
